;; amdgpu-corpus repo=ROCm/rocFFT kind=compiled arch=gfx1201 opt=O3
	.text
	.amdgcn_target "amdgcn-amd-amdhsa--gfx1201"
	.amdhsa_code_object_version 6
	.protected	fft_rtc_back_len78_factors_6_13_wgs_247_tpt_13_dp_ip_CI_unitstride_sbrr_C2R_dirReg ; -- Begin function fft_rtc_back_len78_factors_6_13_wgs_247_tpt_13_dp_ip_CI_unitstride_sbrr_C2R_dirReg
	.globl	fft_rtc_back_len78_factors_6_13_wgs_247_tpt_13_dp_ip_CI_unitstride_sbrr_C2R_dirReg
	.p2align	8
	.type	fft_rtc_back_len78_factors_6_13_wgs_247_tpt_13_dp_ip_CI_unitstride_sbrr_C2R_dirReg,@function
fft_rtc_back_len78_factors_6_13_wgs_247_tpt_13_dp_ip_CI_unitstride_sbrr_C2R_dirReg: ; @fft_rtc_back_len78_factors_6_13_wgs_247_tpt_13_dp_ip_CI_unitstride_sbrr_C2R_dirReg
; %bb.0:
	s_load_b128 s[4:7], s[0:1], 0x0
	v_mul_u32_u24_e32 v1, 0x13b2, v0
	s_clause 0x1
	s_load_b64 s[8:9], s[0:1], 0x50
	s_load_b64 s[10:11], s[0:1], 0x18
	v_mov_b32_e32 v5, 0
	v_lshrrev_b32_e32 v1, 16, v1
	s_delay_alu instid0(VALU_DEP_1) | instskip(SKIP_3) | instid1(VALU_DEP_1)
	v_mad_co_u64_u32 v[1:2], null, ttmp9, 19, v[1:2]
	v_mov_b32_e32 v3, 0
	v_mov_b32_e32 v4, 0
	;; [unrolled: 1-line block ×4, first 2 shown]
	s_wait_kmcnt 0x0
	v_cmp_lt_u64_e64 s2, s[6:7], 2
	v_mov_b32_e32 v9, v1
	s_delay_alu instid0(VALU_DEP_2)
	s_and_b32 vcc_lo, exec_lo, s2
	s_cbranch_vccnz .LBB0_8
; %bb.1:
	s_load_b64 s[2:3], s[0:1], 0x10
	v_dual_mov_b32 v3, 0 :: v_dual_mov_b32 v8, v2
	v_dual_mov_b32 v4, 0 :: v_dual_mov_b32 v7, v1
	s_add_nc_u64 s[12:13], s[10:11], 8
	s_mov_b64 s[14:15], 1
	s_wait_kmcnt 0x0
	s_add_nc_u64 s[16:17], s[2:3], 8
	s_mov_b32 s3, 0
.LBB0_2:                                ; =>This Inner Loop Header: Depth=1
	s_load_b64 s[18:19], s[16:17], 0x0
                                        ; implicit-def: $vgpr9_vgpr10
	s_mov_b32 s2, exec_lo
	s_wait_kmcnt 0x0
	v_or_b32_e32 v6, s19, v8
	s_delay_alu instid0(VALU_DEP_1)
	v_cmpx_ne_u64_e32 0, v[5:6]
	s_wait_alu 0xfffe
	s_xor_b32 s20, exec_lo, s2
	s_cbranch_execz .LBB0_4
; %bb.3:                                ;   in Loop: Header=BB0_2 Depth=1
	s_cvt_f32_u32 s2, s18
	s_cvt_f32_u32 s21, s19
	s_sub_nc_u64 s[24:25], 0, s[18:19]
	s_wait_alu 0xfffe
	s_delay_alu instid0(SALU_CYCLE_1) | instskip(SKIP_1) | instid1(SALU_CYCLE_2)
	s_fmamk_f32 s2, s21, 0x4f800000, s2
	s_wait_alu 0xfffe
	v_s_rcp_f32 s2, s2
	s_delay_alu instid0(TRANS32_DEP_1) | instskip(SKIP_1) | instid1(SALU_CYCLE_2)
	s_mul_f32 s2, s2, 0x5f7ffffc
	s_wait_alu 0xfffe
	s_mul_f32 s21, s2, 0x2f800000
	s_wait_alu 0xfffe
	s_delay_alu instid0(SALU_CYCLE_2) | instskip(SKIP_1) | instid1(SALU_CYCLE_2)
	s_trunc_f32 s21, s21
	s_wait_alu 0xfffe
	s_fmamk_f32 s2, s21, 0xcf800000, s2
	s_cvt_u32_f32 s23, s21
	s_wait_alu 0xfffe
	s_delay_alu instid0(SALU_CYCLE_1) | instskip(SKIP_1) | instid1(SALU_CYCLE_2)
	s_cvt_u32_f32 s22, s2
	s_wait_alu 0xfffe
	s_mul_u64 s[26:27], s[24:25], s[22:23]
	s_wait_alu 0xfffe
	s_mul_hi_u32 s29, s22, s27
	s_mul_i32 s28, s22, s27
	s_mul_hi_u32 s2, s22, s26
	s_mul_i32 s30, s23, s26
	s_wait_alu 0xfffe
	s_add_nc_u64 s[28:29], s[2:3], s[28:29]
	s_mul_hi_u32 s21, s23, s26
	s_mul_hi_u32 s31, s23, s27
	s_add_co_u32 s2, s28, s30
	s_wait_alu 0xfffe
	s_add_co_ci_u32 s2, s29, s21
	s_mul_i32 s26, s23, s27
	s_add_co_ci_u32 s27, s31, 0
	s_wait_alu 0xfffe
	s_add_nc_u64 s[26:27], s[2:3], s[26:27]
	s_wait_alu 0xfffe
	v_add_co_u32 v2, s2, s22, s26
	s_delay_alu instid0(VALU_DEP_1) | instskip(SKIP_1) | instid1(VALU_DEP_1)
	s_cmp_lg_u32 s2, 0
	s_add_co_ci_u32 s23, s23, s27
	v_readfirstlane_b32 s22, v2
	s_wait_alu 0xfffe
	s_delay_alu instid0(VALU_DEP_1)
	s_mul_u64 s[24:25], s[24:25], s[22:23]
	s_wait_alu 0xfffe
	s_mul_hi_u32 s27, s22, s25
	s_mul_i32 s26, s22, s25
	s_mul_hi_u32 s2, s22, s24
	s_mul_i32 s28, s23, s24
	s_wait_alu 0xfffe
	s_add_nc_u64 s[26:27], s[2:3], s[26:27]
	s_mul_hi_u32 s21, s23, s24
	s_mul_hi_u32 s22, s23, s25
	s_wait_alu 0xfffe
	s_add_co_u32 s2, s26, s28
	s_add_co_ci_u32 s2, s27, s21
	s_mul_i32 s24, s23, s25
	s_add_co_ci_u32 s25, s22, 0
	s_wait_alu 0xfffe
	s_add_nc_u64 s[24:25], s[2:3], s[24:25]
	s_wait_alu 0xfffe
	v_add_co_u32 v2, s2, v2, s24
	s_delay_alu instid0(VALU_DEP_1) | instskip(SKIP_1) | instid1(VALU_DEP_1)
	s_cmp_lg_u32 s2, 0
	s_add_co_ci_u32 s2, s23, s25
	v_mul_hi_u32 v6, v7, v2
	s_wait_alu 0xfffe
	v_mad_co_u64_u32 v[9:10], null, v7, s2, 0
	v_mad_co_u64_u32 v[11:12], null, v8, v2, 0
	;; [unrolled: 1-line block ×3, first 2 shown]
	s_delay_alu instid0(VALU_DEP_3) | instskip(SKIP_1) | instid1(VALU_DEP_4)
	v_add_co_u32 v2, vcc_lo, v6, v9
	s_wait_alu 0xfffd
	v_add_co_ci_u32_e32 v6, vcc_lo, 0, v10, vcc_lo
	s_delay_alu instid0(VALU_DEP_2) | instskip(SKIP_1) | instid1(VALU_DEP_2)
	v_add_co_u32 v2, vcc_lo, v2, v11
	s_wait_alu 0xfffd
	v_add_co_ci_u32_e32 v2, vcc_lo, v6, v12, vcc_lo
	s_wait_alu 0xfffd
	v_add_co_ci_u32_e32 v6, vcc_lo, 0, v14, vcc_lo
	s_delay_alu instid0(VALU_DEP_2) | instskip(SKIP_1) | instid1(VALU_DEP_2)
	v_add_co_u32 v2, vcc_lo, v2, v13
	s_wait_alu 0xfffd
	v_add_co_ci_u32_e32 v6, vcc_lo, 0, v6, vcc_lo
	s_delay_alu instid0(VALU_DEP_2) | instskip(SKIP_1) | instid1(VALU_DEP_3)
	v_mul_lo_u32 v11, s19, v2
	v_mad_co_u64_u32 v[9:10], null, s18, v2, 0
	v_mul_lo_u32 v12, s18, v6
	s_delay_alu instid0(VALU_DEP_2) | instskip(NEXT) | instid1(VALU_DEP_2)
	v_sub_co_u32 v9, vcc_lo, v7, v9
	v_add3_u32 v10, v10, v12, v11
	s_delay_alu instid0(VALU_DEP_1) | instskip(SKIP_1) | instid1(VALU_DEP_1)
	v_sub_nc_u32_e32 v11, v8, v10
	s_wait_alu 0xfffd
	v_subrev_co_ci_u32_e64 v11, s2, s19, v11, vcc_lo
	v_add_co_u32 v12, s2, v2, 2
	s_wait_alu 0xf1ff
	v_add_co_ci_u32_e64 v13, s2, 0, v6, s2
	v_sub_co_u32 v14, s2, v9, s18
	v_sub_co_ci_u32_e32 v10, vcc_lo, v8, v10, vcc_lo
	s_wait_alu 0xf1ff
	v_subrev_co_ci_u32_e64 v11, s2, 0, v11, s2
	s_delay_alu instid0(VALU_DEP_3) | instskip(NEXT) | instid1(VALU_DEP_3)
	v_cmp_le_u32_e32 vcc_lo, s18, v14
	v_cmp_eq_u32_e64 s2, s19, v10
	s_wait_alu 0xfffd
	v_cndmask_b32_e64 v14, 0, -1, vcc_lo
	v_cmp_le_u32_e32 vcc_lo, s19, v11
	s_wait_alu 0xfffd
	v_cndmask_b32_e64 v15, 0, -1, vcc_lo
	v_cmp_le_u32_e32 vcc_lo, s18, v9
	;; [unrolled: 3-line block ×3, first 2 shown]
	s_wait_alu 0xfffd
	v_cndmask_b32_e64 v16, 0, -1, vcc_lo
	v_cmp_eq_u32_e32 vcc_lo, s19, v11
	s_wait_alu 0xf1ff
	s_delay_alu instid0(VALU_DEP_2)
	v_cndmask_b32_e64 v9, v16, v9, s2
	s_wait_alu 0xfffd
	v_cndmask_b32_e32 v11, v15, v14, vcc_lo
	v_add_co_u32 v14, vcc_lo, v2, 1
	s_wait_alu 0xfffd
	v_add_co_ci_u32_e32 v15, vcc_lo, 0, v6, vcc_lo
	s_delay_alu instid0(VALU_DEP_3) | instskip(SKIP_1) | instid1(VALU_DEP_2)
	v_cmp_ne_u32_e32 vcc_lo, 0, v11
	s_wait_alu 0xfffd
	v_dual_cndmask_b32 v10, v15, v13 :: v_dual_cndmask_b32 v11, v14, v12
	v_cmp_ne_u32_e32 vcc_lo, 0, v9
	s_wait_alu 0xfffd
	s_delay_alu instid0(VALU_DEP_2) | instskip(NEXT) | instid1(VALU_DEP_3)
	v_cndmask_b32_e32 v10, v6, v10, vcc_lo
	v_cndmask_b32_e32 v9, v2, v11, vcc_lo
.LBB0_4:                                ;   in Loop: Header=BB0_2 Depth=1
	s_wait_alu 0xfffe
	s_and_not1_saveexec_b32 s2, s20
	s_cbranch_execz .LBB0_6
; %bb.5:                                ;   in Loop: Header=BB0_2 Depth=1
	v_cvt_f32_u32_e32 v2, s18
	s_sub_co_i32 s20, 0, s18
	s_delay_alu instid0(VALU_DEP_1) | instskip(NEXT) | instid1(TRANS32_DEP_1)
	v_rcp_iflag_f32_e32 v2, v2
	v_mul_f32_e32 v2, 0x4f7ffffe, v2
	s_delay_alu instid0(VALU_DEP_1) | instskip(SKIP_1) | instid1(VALU_DEP_1)
	v_cvt_u32_f32_e32 v2, v2
	s_wait_alu 0xfffe
	v_mul_lo_u32 v6, s20, v2
	s_delay_alu instid0(VALU_DEP_1) | instskip(NEXT) | instid1(VALU_DEP_1)
	v_mul_hi_u32 v6, v2, v6
	v_add_nc_u32_e32 v2, v2, v6
	s_delay_alu instid0(VALU_DEP_1) | instskip(NEXT) | instid1(VALU_DEP_1)
	v_mul_hi_u32 v2, v7, v2
	v_mul_lo_u32 v6, v2, s18
	v_add_nc_u32_e32 v9, 1, v2
	s_delay_alu instid0(VALU_DEP_2) | instskip(NEXT) | instid1(VALU_DEP_1)
	v_sub_nc_u32_e32 v6, v7, v6
	v_subrev_nc_u32_e32 v10, s18, v6
	v_cmp_le_u32_e32 vcc_lo, s18, v6
	s_wait_alu 0xfffd
	s_delay_alu instid0(VALU_DEP_2) | instskip(SKIP_2) | instid1(VALU_DEP_3)
	v_cndmask_b32_e32 v6, v6, v10, vcc_lo
	v_mov_b32_e32 v10, v5
	v_cndmask_b32_e32 v2, v2, v9, vcc_lo
	v_cmp_le_u32_e32 vcc_lo, s18, v6
	s_delay_alu instid0(VALU_DEP_2) | instskip(SKIP_1) | instid1(VALU_DEP_1)
	v_add_nc_u32_e32 v9, 1, v2
	s_wait_alu 0xfffd
	v_cndmask_b32_e32 v9, v2, v9, vcc_lo
.LBB0_6:                                ;   in Loop: Header=BB0_2 Depth=1
	s_wait_alu 0xfffe
	s_or_b32 exec_lo, exec_lo, s2
	s_load_b64 s[20:21], s[12:13], 0x0
	v_mul_lo_u32 v2, v10, s18
	v_mul_lo_u32 v6, v9, s19
	v_mad_co_u64_u32 v[11:12], null, v9, s18, 0
	s_add_nc_u64 s[14:15], s[14:15], 1
	s_add_nc_u64 s[12:13], s[12:13], 8
	s_wait_alu 0xfffe
	v_cmp_ge_u64_e64 s2, s[14:15], s[6:7]
	s_add_nc_u64 s[16:17], s[16:17], 8
	s_delay_alu instid0(VALU_DEP_2) | instskip(NEXT) | instid1(VALU_DEP_3)
	v_add3_u32 v2, v12, v6, v2
	v_sub_co_u32 v6, vcc_lo, v7, v11
	s_wait_alu 0xfffd
	s_delay_alu instid0(VALU_DEP_2) | instskip(SKIP_3) | instid1(VALU_DEP_2)
	v_sub_co_ci_u32_e32 v2, vcc_lo, v8, v2, vcc_lo
	s_and_b32 vcc_lo, exec_lo, s2
	s_wait_kmcnt 0x0
	v_mul_lo_u32 v7, s21, v6
	v_mul_lo_u32 v2, s20, v2
	v_mad_co_u64_u32 v[3:4], null, s20, v6, v[3:4]
	s_delay_alu instid0(VALU_DEP_1)
	v_add3_u32 v4, v7, v4, v2
	s_wait_alu 0xfffe
	s_cbranch_vccnz .LBB0_8
; %bb.7:                                ;   in Loop: Header=BB0_2 Depth=1
	v_dual_mov_b32 v7, v9 :: v_dual_mov_b32 v8, v10
	s_branch .LBB0_2
.LBB0_8:
	v_mul_hi_u32 v2, 0xaf286bcb, v1
	s_lshl_b64 s[2:3], s[6:7], 3
	s_load_b64 s[0:1], s[0:1], 0x20
	s_add_nc_u64 s[2:3], s[10:11], s[2:3]
	v_mul_hi_u32 v7, 0x13b13b14, v0
	s_load_b64 s[2:3], s[2:3], 0x0
	s_delay_alu instid0(VALU_DEP_2) | instskip(NEXT) | instid1(VALU_DEP_2)
	v_sub_nc_u32_e32 v5, v1, v2
	v_mul_u32_u24_e32 v7, 13, v7
	s_delay_alu instid0(VALU_DEP_2) | instskip(NEXT) | instid1(VALU_DEP_2)
	v_lshrrev_b32_e32 v5, 1, v5
	v_sub_nc_u32_e32 v52, v0, v7
	s_delay_alu instid0(VALU_DEP_2) | instskip(SKIP_2) | instid1(VALU_DEP_2)
	v_add_nc_u32_e32 v2, v5, v2
	s_wait_kmcnt 0x0
	v_cmp_gt_u64_e32 vcc_lo, s[0:1], v[9:10]
	v_lshrrev_b32_e32 v2, 4, v2
	v_mul_lo_u32 v5, s2, v10
	v_mul_lo_u32 v6, s3, v9
	v_mad_co_u64_u32 v[3:4], null, s2, v9, v[3:4]
	s_delay_alu instid0(VALU_DEP_4) | instskip(NEXT) | instid1(VALU_DEP_2)
	v_mul_lo_u32 v2, v2, 19
	v_add3_u32 v4, v6, v4, v5
	s_delay_alu instid0(VALU_DEP_2) | instskip(NEXT) | instid1(VALU_DEP_2)
	v_sub_nc_u32_e32 v1, v1, v2
	v_lshlrev_b64_e32 v[54:55], 4, v[3:4]
	s_delay_alu instid0(VALU_DEP_2) | instskip(NEXT) | instid1(VALU_DEP_1)
	v_mul_u32_u24_e32 v2, 0x4f, v1
	v_lshlrev_b32_e32 v6, 4, v2
	s_and_saveexec_b32 s1, vcc_lo
	s_cbranch_execz .LBB0_12
; %bb.9:
	v_mov_b32_e32 v53, 0
	v_add_co_u32 v0, s0, s8, v54
	s_wait_alu 0xf1ff
	v_add_co_ci_u32_e64 v1, s0, s9, v55, s0
	s_delay_alu instid0(VALU_DEP_3) | instskip(SKIP_1) | instid1(VALU_DEP_1)
	v_lshlrev_b64_e32 v[3:4], 4, v[52:53]
	s_mov_b32 s2, exec_lo
	v_add_co_u32 v3, s0, v0, v3
	s_wait_alu 0xf1ff
	s_delay_alu instid0(VALU_DEP_2)
	v_add_co_ci_u32_e64 v4, s0, v1, v4, s0
	s_clause 0x5
	global_load_b128 v[7:10], v[3:4], off
	global_load_b128 v[11:14], v[3:4], off offset:208
	global_load_b128 v[15:18], v[3:4], off offset:416
	;; [unrolled: 1-line block ×5, first 2 shown]
	v_lshlrev_b32_e32 v3, 4, v52
	s_delay_alu instid0(VALU_DEP_1)
	v_add3_u32 v3, 0, v6, v3
	s_wait_loadcnt 0x5
	ds_store_b128 v3, v[7:10]
	s_wait_loadcnt 0x4
	ds_store_b128 v3, v[11:14] offset:208
	s_wait_loadcnt 0x3
	ds_store_b128 v3, v[15:18] offset:416
	;; [unrolled: 2-line block ×5, first 2 shown]
	v_cmpx_eq_u32_e32 12, v52
	s_cbranch_execz .LBB0_11
; %bb.10:
	global_load_b128 v[7:10], v[0:1], off offset:1248
	v_mov_b32_e32 v52, 12
	s_wait_loadcnt 0x0
	ds_store_b128 v3, v[7:10] offset:1056
.LBB0_11:
	s_wait_alu 0xfffe
	s_or_b32 exec_lo, exec_lo, s2
.LBB0_12:
	s_wait_alu 0xfffe
	s_or_b32 exec_lo, exec_lo, s1
	v_lshl_add_u32 v118, v2, 4, 0
	v_lshlrev_b32_e32 v7, 4, v52
	global_wb scope:SCOPE_SE
	s_wait_dscnt 0x0
	s_barrier_signal -1
	s_barrier_wait -1
	global_inv scope:SCOPE_SE
	v_add_nc_u32_e32 v119, v118, v7
	v_sub_nc_u32_e32 v8, v118, v7
	s_mov_b32 s1, exec_lo
	ds_load_b64 v[2:3], v119
	ds_load_b64 v[4:5], v8 offset:1248
	s_wait_dscnt 0x0
	v_add_f64_e32 v[0:1], v[2:3], v[4:5]
	v_add_f64_e64 v[2:3], v[2:3], -v[4:5]
                                        ; implicit-def: $vgpr4_vgpr5
	v_cmpx_ne_u32_e32 0, v52
	s_wait_alu 0xfffe
	s_xor_b32 s1, exec_lo, s1
	s_cbranch_execz .LBB0_14
; %bb.13:
	v_mov_b32_e32 v53, 0
	s_delay_alu instid0(VALU_DEP_1) | instskip(NEXT) | instid1(VALU_DEP_1)
	v_lshlrev_b64_e32 v[4:5], 4, v[52:53]
	v_add_co_u32 v4, s0, s4, v4
	s_wait_alu 0xf1ff
	s_delay_alu instid0(VALU_DEP_2)
	v_add_co_ci_u32_e64 v5, s0, s5, v5, s0
	global_load_b128 v[9:12], v[4:5], off offset:1152
	ds_load_b64 v[4:5], v8 offset:1256
	ds_load_b64 v[13:14], v119 offset:8
	s_wait_dscnt 0x0
	v_add_f64_e32 v[15:16], v[4:5], v[13:14]
	v_add_f64_e64 v[4:5], v[13:14], -v[4:5]
	s_wait_loadcnt 0x0
	v_fma_f64 v[13:14], v[2:3], v[11:12], v[0:1]
	s_delay_alu instid0(VALU_DEP_2) | instskip(SKIP_2) | instid1(VALU_DEP_4)
	v_fma_f64 v[17:18], v[15:16], v[11:12], v[4:5]
	v_fma_f64 v[0:1], -v[2:3], v[11:12], v[0:1]
	v_fma_f64 v[4:5], v[15:16], v[11:12], -v[4:5]
	v_fma_f64 v[11:12], -v[15:16], v[9:10], v[13:14]
	s_delay_alu instid0(VALU_DEP_4) | instskip(NEXT) | instid1(VALU_DEP_4)
	v_fma_f64 v[13:14], v[2:3], v[9:10], v[17:18]
	v_fma_f64 v[0:1], v[15:16], v[9:10], v[0:1]
	s_delay_alu instid0(VALU_DEP_4)
	v_fma_f64 v[2:3], v[2:3], v[9:10], v[4:5]
	v_dual_mov_b32 v4, v52 :: v_dual_mov_b32 v5, v53
	ds_store_b128 v119, v[11:14]
	ds_store_b128 v8, v[0:3] offset:1248
                                        ; implicit-def: $vgpr0_vgpr1
.LBB0_14:
	s_wait_alu 0xfffe
	s_and_not1_saveexec_b32 s0, s1
	s_cbranch_execz .LBB0_16
; %bb.15:
	ds_store_b128 v119, v[0:3]
	ds_load_b128 v[0:3], v118 offset:624
	v_mov_b32_e32 v4, 0
	v_mov_b32_e32 v5, 0
	s_wait_dscnt 0x0
	v_add_f64_e32 v[0:1], v[0:1], v[0:1]
	v_mul_f64_e32 v[2:3], -2.0, v[2:3]
	ds_store_b128 v118, v[0:3] offset:624
.LBB0_16:
	s_wait_alu 0xfffe
	s_or_b32 exec_lo, exec_lo, s0
	v_lshlrev_b64_e32 v[0:1], 4, v[4:5]
	s_add_nc_u64 s[0:1], s[4:5], 0x480
	v_add3_u32 v53, 0, v7, v6
	s_mov_b32 s3, 0x3febb67a
                                        ; implicit-def: $vgpr42_vgpr43
                                        ; implicit-def: $vgpr50_vgpr51
	s_wait_alu 0xfffe
	s_delay_alu instid0(VALU_DEP_2)
	v_add_co_u32 v4, s0, s0, v0
	s_wait_alu 0xf1ff
	v_add_co_ci_u32_e64 v5, s0, s1, v1, s0
	s_mov_b32 s0, 0xe8584caa
	s_mov_b32 s1, 0xbfebb67a
	s_wait_alu 0xfffe
	s_mov_b32 s2, s0
	s_clause 0x1
	global_load_b128 v[0:3], v[4:5], off offset:208
	global_load_b128 v[9:12], v[4:5], off offset:416
	ds_load_b128 v[13:16], v119 offset:208
	ds_load_b128 v[17:20], v8 offset:1040
	s_wait_dscnt 0x0
	v_add_f64_e32 v[4:5], v[13:14], v[17:18]
	v_add_f64_e32 v[21:22], v[19:20], v[15:16]
	v_add_f64_e64 v[17:18], v[13:14], -v[17:18]
	v_add_f64_e64 v[13:14], v[15:16], -v[19:20]
	s_wait_loadcnt 0x1
	s_delay_alu instid0(VALU_DEP_2) | instskip(NEXT) | instid1(VALU_DEP_2)
	v_fma_f64 v[15:16], v[17:18], v[2:3], v[4:5]
	v_fma_f64 v[19:20], v[21:22], v[2:3], v[13:14]
	v_fma_f64 v[23:24], -v[17:18], v[2:3], v[4:5]
	v_fma_f64 v[25:26], v[21:22], v[2:3], -v[13:14]
	s_delay_alu instid0(VALU_DEP_4) | instskip(NEXT) | instid1(VALU_DEP_4)
	v_fma_f64 v[2:3], -v[21:22], v[0:1], v[15:16]
	v_fma_f64 v[4:5], v[17:18], v[0:1], v[19:20]
	s_delay_alu instid0(VALU_DEP_4) | instskip(NEXT) | instid1(VALU_DEP_4)
	v_fma_f64 v[13:14], v[21:22], v[0:1], v[23:24]
	v_fma_f64 v[15:16], v[17:18], v[0:1], v[25:26]
	ds_store_b128 v119, v[2:5] offset:208
	ds_store_b128 v8, v[13:16] offset:1040
	ds_load_b128 v[0:3], v119 offset:416
	ds_load_b128 v[13:16], v8 offset:832
	s_wait_dscnt 0x0
	v_add_f64_e32 v[4:5], v[0:1], v[13:14]
	v_add_f64_e32 v[17:18], v[15:16], v[2:3]
	v_add_f64_e64 v[13:14], v[0:1], -v[13:14]
	v_add_f64_e64 v[0:1], v[2:3], -v[15:16]
	s_wait_loadcnt 0x0
	s_delay_alu instid0(VALU_DEP_2) | instskip(NEXT) | instid1(VALU_DEP_2)
	v_fma_f64 v[2:3], v[13:14], v[11:12], v[4:5]
	v_fma_f64 v[15:16], v[17:18], v[11:12], v[0:1]
	v_fma_f64 v[4:5], -v[13:14], v[11:12], v[4:5]
	v_fma_f64 v[19:20], v[17:18], v[11:12], -v[0:1]
	s_delay_alu instid0(VALU_DEP_4) | instskip(NEXT) | instid1(VALU_DEP_4)
	v_fma_f64 v[0:1], -v[17:18], v[9:10], v[2:3]
	v_fma_f64 v[2:3], v[13:14], v[9:10], v[15:16]
	s_delay_alu instid0(VALU_DEP_4) | instskip(NEXT) | instid1(VALU_DEP_4)
	v_fma_f64 v[11:12], v[17:18], v[9:10], v[4:5]
	v_fma_f64 v[13:14], v[13:14], v[9:10], v[19:20]
	ds_store_b128 v119, v[0:3] offset:416
	ds_store_b128 v8, v[11:14] offset:832
	global_wb scope:SCOPE_SE
	s_wait_dscnt 0x0
	s_barrier_signal -1
	s_barrier_wait -1
	global_inv scope:SCOPE_SE
	global_wb scope:SCOPE_SE
	s_barrier_signal -1
	s_barrier_wait -1
	global_inv scope:SCOPE_SE
	ds_load_b128 v[0:3], v53 offset:624
	ds_load_b128 v[4:7], v53 offset:1040
	ds_load_b128 v[8:11], v53 offset:208
	s_wait_dscnt 0x1
	v_add_f64_e32 v[12:13], v[2:3], v[6:7]
	v_add_f64_e32 v[20:21], v[0:1], v[4:5]
	v_add_f64_e64 v[22:23], v[0:1], -v[4:5]
	v_add_f64_e64 v[30:31], v[2:3], -v[6:7]
	s_wait_dscnt 0x0
	v_add_f64_e32 v[0:1], v[8:9], v[0:1]
	v_add_f64_e32 v[2:3], v[10:11], v[2:3]
	v_fma_f64 v[24:25], v[12:13], -0.5, v[10:11]
	ds_load_b128 v[12:15], v53 offset:416
	ds_load_b128 v[16:19], v53 offset:832
	v_fma_f64 v[32:33], v[20:21], -0.5, v[8:9]
	v_add_f64_e32 v[4:5], v[0:1], v[4:5]
	v_add_f64_e32 v[6:7], v[2:3], v[6:7]
	s_wait_dscnt 0x0
	v_add_f64_e32 v[26:27], v[12:13], v[16:17]
	v_add_f64_e32 v[28:29], v[14:15], v[18:19]
	v_add_f64_e64 v[38:39], v[14:15], -v[18:19]
	s_wait_alu 0xfffe
	v_fma_f64 v[34:35], v[22:23], s[2:3], v[24:25]
	v_fma_f64 v[24:25], v[22:23], s[0:1], v[24:25]
	ds_load_b128 v[20:23], v119
	global_wb scope:SCOPE_SE
	s_wait_dscnt 0x0
	s_barrier_signal -1
	s_barrier_wait -1
	global_inv scope:SCOPE_SE
	v_add_f64_e32 v[36:37], v[20:21], v[12:13]
	v_add_f64_e32 v[14:15], v[22:23], v[14:15]
	v_add_f64_e64 v[12:13], v[12:13], -v[16:17]
	v_fma_f64 v[8:9], v[26:27], -0.5, v[20:21]
	v_fma_f64 v[10:11], v[28:29], -0.5, v[22:23]
	v_fma_f64 v[20:21], v[30:31], s[0:1], v[32:33]
	v_fma_f64 v[22:23], v[30:31], s[2:3], v[32:33]
	v_mul_f64_e32 v[26:27], s[0:1], v[34:35]
	v_mul_f64_e32 v[28:29], s[0:1], v[24:25]
	v_mul_f64_e32 v[30:31], 0.5, v[34:35]
	v_mul_f64_e32 v[24:25], -0.5, v[24:25]
	v_add_f64_e32 v[16:17], v[36:37], v[16:17]
	v_add_f64_e32 v[14:15], v[14:15], v[18:19]
	v_fma_f64 v[18:19], v[38:39], s[0:1], v[8:9]
	v_fma_f64 v[32:33], v[38:39], s[2:3], v[8:9]
	;; [unrolled: 1-line block ×4, first 2 shown]
	v_cmp_gt_u32_e64 s0, 6, v52
	v_fma_f64 v[12:13], v[20:21], 0.5, v[26:27]
	v_fma_f64 v[26:27], v[22:23], -0.5, v[28:29]
	v_fma_f64 v[20:21], v[20:21], s[2:3], v[30:31]
	v_fma_f64 v[22:23], v[22:23], s[2:3], v[24:25]
                                        ; implicit-def: $vgpr30_vgpr31
	v_add_f64_e32 v[0:1], v[16:17], v[4:5]
	v_add_f64_e32 v[2:3], v[14:15], v[6:7]
	v_add_f64_e64 v[4:5], v[16:17], -v[4:5]
	v_add_f64_e64 v[6:7], v[14:15], -v[6:7]
	v_mad_u32_u24 v16, 0x50, v52, v53
	v_add_f64_e32 v[8:9], v[18:19], v[12:13]
	v_add_f64_e32 v[36:37], v[32:33], v[26:27]
	;; [unrolled: 1-line block ×4, first 2 shown]
	v_add_f64_e64 v[12:13], v[18:19], -v[12:13]
	v_add_f64_e64 v[44:45], v[32:33], -v[26:27]
	v_add_f64_e64 v[14:15], v[34:35], -v[20:21]
	v_add_f64_e64 v[46:47], v[40:41], -v[22:23]
                                        ; implicit-def: $vgpr34_vgpr35
                                        ; implicit-def: $vgpr26_vgpr27
                                        ; implicit-def: $vgpr22_vgpr23
                                        ; implicit-def: $vgpr18_vgpr19
	ds_store_b128 v16, v[0:3]
	ds_store_b128 v16, v[8:11] offset:16
	ds_store_b128 v16, v[36:39] offset:32
	;; [unrolled: 1-line block ×5, first 2 shown]
	global_wb scope:SCOPE_SE
	s_wait_dscnt 0x0
	s_barrier_signal -1
	s_barrier_wait -1
	global_inv scope:SCOPE_SE
	s_and_saveexec_b32 s1, s0
	s_cbranch_execz .LBB0_18
; %bb.17:
	ds_load_b128 v[0:3], v119
	ds_load_b128 v[8:11], v53 offset:96
	ds_load_b128 v[36:39], v53 offset:192
	ds_load_b128 v[4:7], v53 offset:288
	ds_load_b128 v[12:15], v53 offset:384
	ds_load_b128 v[44:47], v53 offset:480
	ds_load_b128 v[16:19], v53 offset:576
	ds_load_b128 v[20:23], v53 offset:672
	ds_load_b128 v[28:31], v53 offset:768
	ds_load_b128 v[24:27], v53 offset:864
	ds_load_b128 v[32:35], v53 offset:960
	ds_load_b128 v[48:51], v53 offset:1056
	ds_load_b128 v[40:43], v53 offset:1152
.LBB0_18:
	s_wait_alu 0xfffe
	s_or_b32 exec_lo, exec_lo, s1
	global_wb scope:SCOPE_SE
	s_wait_dscnt 0x0
	s_barrier_signal -1
	s_barrier_wait -1
	global_inv scope:SCOPE_SE
	s_and_saveexec_b32 s30, s0
	s_cbranch_execz .LBB0_20
; %bb.19:
	v_and_b32_e32 v56, 0xff, v52
	s_mov_b32 s29, 0x3fddbe06
	s_mov_b32 s28, 0x4267c47c
	;; [unrolled: 1-line block ×4, first 2 shown]
	v_mul_lo_u16 v56, 0xab, v56
	s_mov_b32 s16, 0x24c2f84
	s_mov_b32 s18, 0x4bc48dbf
	;; [unrolled: 1-line block ×4, first 2 shown]
	v_lshrrev_b16 v56, 10, v56
	s_mov_b32 s17, 0xbfe5384d
	s_mov_b32 s19, 0xbfcea1e5
	;; [unrolled: 1-line block ×4, first 2 shown]
	v_mul_lo_u16 v56, v56, 6
	s_wait_alu 0xfffe
	s_mov_b32 s22, s26
	s_mov_b32 s24, 0xe00740e9
	;; [unrolled: 1-line block ×4, first 2 shown]
	v_sub_nc_u16 v56, v52, v56
	s_mov_b32 s6, 0xb2365da1
	s_mov_b32 s14, 0x1ea71119
	;; [unrolled: 1-line block ×4, first 2 shown]
	v_mul_lo_u16 v56, v56, 12
	s_mov_b32 s1, 0x3fbedb7d
	s_mov_b32 s7, 0xbfd6b1d8
	;; [unrolled: 1-line block ×4, first 2 shown]
	v_and_b32_e32 v56, 0xfc, v56
	s_mov_b32 s13, 0xbfef11f4
	s_mov_b32 s35, 0x3fe5384d
	;; [unrolled: 1-line block ×3, first 2 shown]
	s_delay_alu instid0(VALU_DEP_1)
	v_lshlrev_b32_e32 v78, 4, v56
	s_clause 0x1
	global_load_b128 v[58:61], v78, s[4:5] offset:64
	global_load_b128 v[62:65], v78, s[4:5] offset:80
	s_wait_loadcnt 0x1
	v_mul_f64_e32 v[56:57], v[46:47], v[60:61]
	s_delay_alu instid0(VALU_DEP_1) | instskip(SKIP_1) | instid1(VALU_DEP_1)
	v_fma_f64 v[56:57], v[44:45], v[58:59], v[56:57]
	v_mul_f64_e32 v[44:45], v[44:45], v[60:61]
	v_fma_f64 v[44:45], v[46:47], v[58:59], -v[44:45]
	s_clause 0x3
	global_load_b128 v[58:61], v78, s[4:5] offset:16
	global_load_b128 v[66:69], v78, s[4:5]
	global_load_b128 v[70:73], v78, s[4:5] offset:160
	global_load_b128 v[74:77], v78, s[4:5] offset:176
	s_wait_loadcnt 0x3
	v_mul_f64_e32 v[46:47], v[38:39], v[60:61]
	s_delay_alu instid0(VALU_DEP_1) | instskip(SKIP_1) | instid1(VALU_DEP_1)
	v_fma_f64 v[46:47], v[36:37], v[58:59], v[46:47]
	v_mul_f64_e32 v[36:37], v[36:37], v[60:61]
	v_fma_f64 v[58:59], v[38:39], v[58:59], -v[36:37]
	s_wait_loadcnt 0x1
	v_mul_f64_e32 v[36:37], v[50:51], v[72:73]
	v_mul_f64_e32 v[38:39], v[48:49], v[72:73]
	s_delay_alu instid0(VALU_DEP_2) | instskip(SKIP_1) | instid1(VALU_DEP_3)
	v_fma_f64 v[36:37], v[48:49], v[70:71], v[36:37]
	v_mul_f64_e32 v[48:49], v[10:11], v[68:69]
	v_fma_f64 v[38:39], v[50:51], v[70:71], -v[38:39]
	s_delay_alu instid0(VALU_DEP_2) | instskip(SKIP_1) | instid1(VALU_DEP_1)
	v_fma_f64 v[60:61], v[8:9], v[66:67], v[48:49]
	v_mul_f64_e32 v[8:9], v[8:9], v[68:69]
	v_fma_f64 v[86:87], v[10:11], v[66:67], -v[8:9]
	s_clause 0x1
	global_load_b128 v[48:51], v78, s[4:5] offset:112
	global_load_b128 v[66:69], v78, s[4:5] offset:96
	s_wait_loadcnt 0x2
	v_mul_f64_e32 v[8:9], v[42:43], v[76:77]
	v_mul_f64_e32 v[10:11], v[40:41], v[76:77]
	s_delay_alu instid0(VALU_DEP_2) | instskip(NEXT) | instid1(VALU_DEP_2)
	v_fma_f64 v[8:9], v[40:41], v[74:75], v[8:9]
	v_fma_f64 v[10:11], v[42:43], v[74:75], -v[10:11]
	s_delay_alu instid0(VALU_DEP_2) | instskip(NEXT) | instid1(VALU_DEP_2)
	v_add_f64_e64 v[88:89], v[60:61], -v[8:9]
	v_add_f64_e32 v[108:109], v[86:87], v[10:11]
	v_add_f64_e32 v[134:135], v[60:61], v[8:9]
	v_add_f64_e32 v[60:61], v[0:1], v[60:61]
	s_delay_alu instid0(VALU_DEP_4) | instskip(SKIP_4) | instid1(VALU_DEP_4)
	v_mul_f64_e32 v[90:91], s[18:19], v[88:89]
	v_mul_f64_e32 v[96:97], s[16:17], v[88:89]
	;; [unrolled: 1-line block ×3, first 2 shown]
	s_wait_alu 0xfffe
	v_mul_f64_e32 v[106:107], s[22:23], v[88:89]
	v_fma_f64 v[110:111], v[108:109], s[12:13], v[90:91]
	v_fma_f64 v[90:91], v[108:109], s[12:13], -v[90:91]
	v_fma_f64 v[112:113], v[108:109], s[10:11], v[96:97]
	v_fma_f64 v[96:97], v[108:109], s[10:11], -v[96:97]
	;; [unrolled: 2-line block ×4, first 2 shown]
	v_add_f64_e32 v[110:111], v[2:3], v[110:111]
	v_add_f64_e32 v[150:151], v[2:3], v[90:91]
	;; [unrolled: 1-line block ×5, first 2 shown]
	s_wait_loadcnt 0x1
	v_mul_f64_e32 v[40:41], v[30:31], v[50:51]
	s_delay_alu instid0(VALU_DEP_1) | instskip(SKIP_1) | instid1(VALU_DEP_2)
	v_fma_f64 v[40:41], v[28:29], v[48:49], v[40:41]
	v_mul_f64_e32 v[28:29], v[28:29], v[50:51]
	v_add_f64_e32 v[168:169], v[56:57], v[40:41]
	s_delay_alu instid0(VALU_DEP_2)
	v_fma_f64 v[28:29], v[30:31], v[48:49], -v[28:29]
	s_clause 0x1
	global_load_b128 v[48:51], v78, s[4:5] offset:32
	global_load_b128 v[70:73], v78, s[4:5] offset:48
	v_add_f64_e32 v[166:167], v[44:45], v[28:29]
	s_wait_loadcnt 0x1
	v_mul_f64_e32 v[30:31], v[6:7], v[50:51]
	s_delay_alu instid0(VALU_DEP_1) | instskip(SKIP_1) | instid1(VALU_DEP_1)
	v_fma_f64 v[30:31], v[4:5], v[48:49], v[30:31]
	v_mul_f64_e32 v[4:5], v[4:5], v[50:51]
	v_fma_f64 v[42:43], v[6:7], v[48:49], -v[4:5]
	s_clause 0x1
	global_load_b128 v[48:51], v78, s[4:5] offset:144
	global_load_b128 v[74:77], v78, s[4:5] offset:128
	s_mov_b32 s4, 0x66966769
	s_mov_b32 s5, 0x3fefc445
	s_wait_alu 0xfffe
	s_mov_b32 s20, s4
	s_wait_alu 0xfffe
	v_mul_f64_e32 v[100:101], s[20:21], v[88:89]
	s_delay_alu instid0(VALU_DEP_1) | instskip(SKIP_4) | instid1(VALU_DEP_2)
	v_fma_f64 v[120:121], v[108:109], s[0:1], v[100:101]
	v_fma_f64 v[100:101], v[108:109], s[0:1], -v[100:101]
	s_wait_loadcnt 0x1
	v_mul_f64_e32 v[4:5], v[34:35], v[50:51]
	v_mul_f64_e32 v[6:7], v[32:33], v[50:51]
	v_fma_f64 v[4:5], v[32:33], v[48:49], v[4:5]
	v_mul_f64_e32 v[32:33], v[14:15], v[72:73]
	s_delay_alu instid0(VALU_DEP_3) | instskip(SKIP_1) | instid1(VALU_DEP_3)
	v_fma_f64 v[6:7], v[34:35], v[48:49], -v[6:7]
	v_add_f64_e64 v[48:49], v[56:57], -v[40:41]
	v_fma_f64 v[32:33], v[12:13], v[70:71], v[32:33]
	v_mul_f64_e32 v[12:13], v[12:13], v[72:73]
	v_add_f64_e64 v[72:73], v[46:47], -v[36:37]
	s_delay_alu instid0(VALU_DEP_4) | instskip(SKIP_1) | instid1(VALU_DEP_4)
	v_mul_f64_e32 v[94:95], s[28:29], v[48:49]
	v_mul_f64_e32 v[186:187], s[4:5], v[48:49]
	v_fma_f64 v[34:35], v[14:15], v[70:71], -v[12:13]
	s_wait_loadcnt 0x0
	v_mul_f64_e32 v[12:13], v[26:27], v[76:77]
	v_mul_f64_e32 v[14:15], v[24:25], v[76:77]
	v_add_f64_e64 v[70:71], v[58:59], -v[38:39]
	v_mul_f64_e32 v[102:103], s[28:29], v[72:73]
	v_mul_f64_e32 v[190:191], s[18:19], v[72:73]
	v_fma_f64 v[12:13], v[24:25], v[74:75], v[12:13]
	v_mul_f64_e32 v[24:25], v[18:19], v[64:65]
	v_fma_f64 v[14:15], v[26:27], v[74:75], -v[14:15]
	v_mul_f64_e32 v[104:105], s[28:29], v[70:71]
	s_delay_alu instid0(VALU_DEP_4) | instskip(NEXT) | instid1(VALU_DEP_4)
	v_add_f64_e32 v[164:165], v[32:33], v[12:13]
	v_fma_f64 v[24:25], v[16:17], v[62:63], v[24:25]
	v_mul_f64_e32 v[16:17], v[16:17], v[64:65]
	v_add_f64_e64 v[64:65], v[32:33], -v[12:13]
	v_add_f64_e32 v[162:163], v[34:35], v[14:15]
	s_delay_alu instid0(VALU_DEP_3) | instskip(SKIP_4) | instid1(VALU_DEP_4)
	v_fma_f64 v[18:19], v[18:19], v[62:63], -v[16:17]
	v_mul_f64_e32 v[16:17], v[22:23], v[68:69]
	v_add_f64_e64 v[62:63], v[34:35], -v[14:15]
	v_mul_f64_e32 v[80:81], s[28:29], v[64:65]
	v_mul_f64_e32 v[182:183], s[34:35], v[64:65]
	v_fma_f64 v[16:17], v[20:21], v[66:67], v[16:17]
	v_mul_f64_e32 v[20:21], v[20:21], v[68:69]
	v_add_f64_e64 v[68:69], v[30:31], -v[4:5]
	v_mul_f64_e32 v[78:79], s[28:29], v[62:63]
	v_mul_f64_e32 v[184:185], s[34:35], v[62:63]
	v_add_f64_e64 v[26:27], v[24:25], -v[16:17]
	v_fma_f64 v[20:21], v[22:23], v[66:67], -v[20:21]
	v_add_f64_e64 v[22:23], v[44:45], -v[28:29]
	v_add_f64_e64 v[66:67], v[42:43], -v[6:7]
	v_mul_f64_e32 v[84:85], s[28:29], v[68:69]
	v_add_f64_e32 v[176:177], v[24:25], v[16:17]
	v_mul_f64_e32 v[74:75], s[28:29], v[26:27]
	v_add_f64_e64 v[50:51], v[18:19], -v[20:21]
	v_mul_f64_e32 v[92:93], s[28:29], v[22:23]
	v_mul_f64_e32 v[82:83], s[28:29], v[66:67]
	v_add_f64_e32 v[172:173], v[18:19], v[20:21]
	v_mul_f64_e32 v[174:175], s[4:5], v[26:27]
	v_mul_f64_e32 v[180:181], s[18:19], v[66:67]
	;; [unrolled: 1-line block ×5, first 2 shown]
	s_mov_b32 s29, 0xbfddbe06
	v_mul_f64_e32 v[178:179], s[4:5], v[50:51]
	s_wait_alu 0xfffe
	v_mul_f64_e32 v[88:89], s[28:29], v[88:89]
	v_mul_f64_e32 v[202:203], s[16:17], v[50:51]
	s_delay_alu instid0(VALU_DEP_2) | instskip(SKIP_3) | instid1(VALU_DEP_3)
	v_fma_f64 v[126:127], v[108:109], s[24:25], v[88:89]
	v_fma_f64 v[128:129], v[108:109], s[24:25], -v[88:89]
	v_add_f64_e64 v[88:89], v[86:87], -v[10:11]
	v_add_f64_e32 v[86:87], v[2:3], v[86:87]
	v_add_f64_e32 v[96:97], v[2:3], v[128:129]
	s_delay_alu instid0(VALU_DEP_3)
	v_mul_f64_e32 v[106:107], s[18:19], v[88:89]
	v_mul_f64_e32 v[108:109], s[16:17], v[88:89]
	;; [unrolled: 1-line block ×6, first 2 shown]
	s_mov_b32 s29, 0x3fcea1e5
	s_mov_b32 s28, s18
	v_fma_f64 v[136:137], v[134:135], s[12:13], -v[106:107]
	v_fma_f64 v[106:107], v[134:135], s[12:13], v[106:107]
	v_fma_f64 v[138:139], v[134:135], s[10:11], -v[108:109]
	v_fma_f64 v[108:109], v[134:135], s[10:11], v[108:109]
	;; [unrolled: 2-line block ×6, first 2 shown]
	v_add_f64_e32 v[116:117], v[2:3], v[98:99]
	v_add_f64_e32 v[88:89], v[2:3], v[126:127]
	;; [unrolled: 1-line block ×19, first 2 shown]
	v_mul_f64_e32 v[124:125], s[16:17], v[68:69]
	v_add_f64_e32 v[148:149], v[30:31], v[4:5]
	s_delay_alu instid0(VALU_DEP_3) | instskip(SKIP_1) | instid1(VALU_DEP_2)
	v_fma_f64 v[112:113], v[0:1], s[24:25], v[102:103]
	v_fma_f64 v[102:103], v[0:1], s[24:25], -v[102:103]
	v_add_f64_e32 v[120:121], v[112:113], v[110:111]
	v_add_f64_e32 v[110:111], v[46:47], v[36:37]
	s_delay_alu instid0(VALU_DEP_3) | instskip(SKIP_1) | instid1(VALU_DEP_3)
	v_add_f64_e32 v[102:103], v[102:103], v[150:151]
	v_add_f64_e32 v[46:47], v[60:61], v[46:47]
	v_fma_f64 v[112:113], v[110:111], s[24:25], -v[104:105]
	v_fma_f64 v[104:105], v[110:111], s[24:25], v[104:105]
	s_delay_alu instid0(VALU_DEP_3) | instskip(NEXT) | instid1(VALU_DEP_3)
	v_add_f64_e32 v[30:31], v[46:47], v[30:31]
	v_add_f64_e32 v[122:123], v[112:113], v[136:137]
	v_add_f64_e32 v[112:113], v[42:43], v[6:7]
	s_delay_alu instid0(VALU_DEP_4) | instskip(NEXT) | instid1(VALU_DEP_4)
	v_add_f64_e32 v[104:105], v[104:105], v[152:153]
	v_add_f64_e32 v[30:31], v[30:31], v[32:33]
	s_delay_alu instid0(VALU_DEP_3) | instskip(SKIP_1) | instid1(VALU_DEP_3)
	v_fma_f64 v[126:127], v[112:113], s[10:11], v[124:125]
	v_fma_f64 v[124:125], v[112:113], s[10:11], -v[124:125]
	v_add_f64_e32 v[30:31], v[30:31], v[56:57]
	s_delay_alu instid0(VALU_DEP_3) | instskip(SKIP_1) | instid1(VALU_DEP_4)
	v_add_f64_e32 v[120:121], v[126:127], v[120:121]
	v_mul_f64_e32 v[126:127], s[16:17], v[66:67]
	v_add_f64_e32 v[102:103], v[124:125], v[102:103]
	s_delay_alu instid0(VALU_DEP_2) | instskip(SKIP_2) | instid1(VALU_DEP_3)
	v_fma_f64 v[128:129], v[148:149], s[10:11], -v[126:127]
	v_fma_f64 v[124:125], v[148:149], s[10:11], v[126:127]
	v_fma_f64 v[126:127], v[176:177], s[0:1], v[178:179]
	v_add_f64_e32 v[122:123], v[128:129], v[122:123]
	v_mul_f64_e32 v[128:129], s[26:27], v[64:65]
	s_delay_alu instid0(VALU_DEP_4) | instskip(NEXT) | instid1(VALU_DEP_2)
	v_add_f64_e32 v[104:105], v[124:125], v[104:105]
	v_fma_f64 v[130:131], v[162:163], s[14:15], v[128:129]
	v_fma_f64 v[124:125], v[162:163], s[14:15], -v[128:129]
	v_mul_f64_e32 v[128:129], s[4:5], v[72:73]
	s_delay_alu instid0(VALU_DEP_3) | instskip(SKIP_1) | instid1(VALU_DEP_4)
	v_add_f64_e32 v[120:121], v[130:131], v[120:121]
	v_mul_f64_e32 v[130:131], s[26:27], v[62:63]
	v_add_f64_e32 v[102:103], v[124:125], v[102:103]
	s_delay_alu instid0(VALU_DEP_2) | instskip(SKIP_4) | instid1(VALU_DEP_3)
	v_fma_f64 v[134:135], v[164:165], s[14:15], -v[130:131]
	v_fma_f64 v[124:125], v[164:165], s[14:15], v[130:131]
	v_mul_f64_e32 v[130:131], s[4:5], v[70:71]
	s_mov_b32 s5, 0x3fedeba7
	s_mov_b32 s4, s2
	v_add_f64_e32 v[122:123], v[134:135], v[122:123]
	v_mul_f64_e32 v[134:135], s[2:3], v[48:49]
	s_delay_alu instid0(VALU_DEP_4) | instskip(NEXT) | instid1(VALU_DEP_2)
	v_add_f64_e32 v[104:105], v[124:125], v[104:105]
	v_fma_f64 v[136:137], v[166:167], s[6:7], v[134:135]
	v_fma_f64 v[124:125], v[166:167], s[6:7], -v[134:135]
	v_mul_f64_e32 v[134:135], s[22:23], v[68:69]
	s_delay_alu instid0(VALU_DEP_3) | instskip(SKIP_1) | instid1(VALU_DEP_4)
	v_add_f64_e32 v[120:121], v[136:137], v[120:121]
	v_mul_f64_e32 v[136:137], s[2:3], v[22:23]
	v_add_f64_e32 v[102:103], v[124:125], v[102:103]
	s_delay_alu instid0(VALU_DEP_2) | instskip(SKIP_3) | instid1(VALU_DEP_4)
	v_fma_f64 v[124:125], v[168:169], s[6:7], v[136:137]
	v_fma_f64 v[170:171], v[168:169], s[6:7], -v[136:137]
	v_fma_f64 v[136:137], v[112:113], s[14:15], v[134:135]
	v_fma_f64 v[134:135], v[112:113], s[14:15], -v[134:135]
	v_add_f64_e32 v[124:125], v[124:125], v[104:105]
	v_fma_f64 v[104:105], v[172:173], s[0:1], -v[174:175]
	v_add_f64_e32 v[170:171], v[170:171], v[122:123]
	v_fma_f64 v[122:123], v[172:173], s[0:1], v[174:175]
	v_mul_f64_e32 v[174:175], s[2:3], v[72:73]
	s_delay_alu instid0(VALU_DEP_4)
	v_add_f64_e32 v[104:105], v[104:105], v[102:103]
	v_add_f64_e32 v[102:103], v[126:127], v[124:125]
	v_fma_f64 v[124:125], v[0:1], s[0:1], v[128:129]
	v_fma_f64 v[126:127], v[110:111], s[0:1], -v[130:131]
	v_fma_f64 v[128:129], v[0:1], s[0:1], -v[128:129]
	v_fma_f64 v[130:131], v[110:111], s[0:1], v[130:131]
	v_add_f64_e32 v[122:123], v[122:123], v[120:121]
	v_fma_f64 v[120:121], v[176:177], s[0:1], -v[178:179]
	v_mul_f64_e32 v[178:179], s[18:19], v[68:69]
	v_add_f64_e32 v[124:125], v[124:125], v[154:155]
	v_add_f64_e32 v[126:127], v[126:127], v[138:139]
	v_add_f64_e32 v[128:129], v[128:129], v[156:157]
	v_add_f64_e32 v[130:131], v[130:131], v[158:159]
	v_mul_f64_e32 v[154:155], s[2:3], v[26:27]
	v_add_f64_e32 v[120:121], v[120:121], v[170:171]
	v_mul_f64_e32 v[170:171], s[2:3], v[50:51]
	s_wait_alu 0xfffe
	v_mul_f64_e32 v[156:157], s[28:29], v[48:49]
	v_mul_f64_e32 v[158:159], s[28:29], v[22:23]
	v_add_f64_e32 v[124:125], v[136:137], v[124:125]
	v_mul_f64_e32 v[136:137], s[22:23], v[66:67]
	v_add_f64_e32 v[128:129], v[134:135], v[128:129]
	s_delay_alu instid0(VALU_DEP_2) | instskip(SKIP_1) | instid1(VALU_DEP_2)
	v_fma_f64 v[138:139], v[148:149], s[14:15], -v[136:137]
	v_fma_f64 v[134:135], v[148:149], s[14:15], v[136:137]
	v_add_f64_e32 v[126:127], v[138:139], v[126:127]
	v_mul_f64_e32 v[138:139], s[28:29], v[64:65]
	s_delay_alu instid0(VALU_DEP_3) | instskip(NEXT) | instid1(VALU_DEP_2)
	v_add_f64_e32 v[130:131], v[134:135], v[130:131]
	v_fma_f64 v[150:151], v[162:163], s[12:13], v[138:139]
	v_fma_f64 v[134:135], v[162:163], s[12:13], -v[138:139]
	s_delay_alu instid0(VALU_DEP_2) | instskip(SKIP_1) | instid1(VALU_DEP_3)
	v_add_f64_e32 v[124:125], v[150:151], v[124:125]
	v_mul_f64_e32 v[150:151], s[28:29], v[62:63]
	v_add_f64_e32 v[128:129], v[134:135], v[128:129]
	s_delay_alu instid0(VALU_DEP_2) | instskip(SKIP_3) | instid1(VALU_DEP_4)
	v_fma_f64 v[152:153], v[164:165], s[12:13], -v[150:151]
	v_fma_f64 v[134:135], v[164:165], s[12:13], v[150:151]
	v_mul_f64_e32 v[150:151], s[34:35], v[72:73]
	v_mul_f64_e32 v[72:73], s[22:23], v[72:73]
	v_add_f64_e32 v[126:127], v[152:153], v[126:127]
	v_fma_f64 v[152:153], v[166:167], s[24:25], v[94:95]
	v_fma_f64 v[94:95], v[166:167], s[24:25], -v[94:95]
	v_add_f64_e32 v[130:131], v[134:135], v[130:131]
	v_fma_f64 v[134:135], v[112:113], s[24:25], v[84:85]
	v_fma_f64 v[84:85], v[112:113], s[24:25], -v[84:85]
	v_add_f64_e32 v[124:125], v[152:153], v[124:125]
	v_fma_f64 v[152:153], v[168:169], s[24:25], -v[92:93]
	v_add_f64_e32 v[94:95], v[94:95], v[128:129]
	v_fma_f64 v[92:93], v[168:169], s[24:25], v[92:93]
	v_fma_f64 v[128:129], v[172:173], s[6:7], -v[154:155]
	s_delay_alu instid0(VALU_DEP_4) | instskip(SKIP_1) | instid1(VALU_DEP_4)
	v_add_f64_e32 v[152:153], v[152:153], v[126:127]
	v_fma_f64 v[126:127], v[172:173], s[6:7], v[154:155]
	v_add_f64_e32 v[92:93], v[92:93], v[130:131]
	v_fma_f64 v[130:131], v[176:177], s[6:7], v[170:171]
	;; [unrolled: 2-line block ×3, first 2 shown]
	v_mul_f64_e32 v[154:155], s[20:21], v[62:63]
	v_fma_f64 v[150:151], v[0:1], s[10:11], -v[150:151]
	v_mul_f64_e32 v[62:63], s[2:3], v[62:63]
	v_add_f64_e32 v[126:127], v[126:127], v[124:125]
	v_fma_f64 v[124:125], v[176:177], s[6:7], -v[170:171]
	v_add_f64_e32 v[92:93], v[130:131], v[92:93]
	v_mul_f64_e32 v[170:171], s[26:27], v[50:51]
	v_add_f64_e32 v[128:129], v[128:129], v[160:161]
	v_mul_f64_e32 v[160:161], s[26:27], v[26:27]
	;; [unrolled: 2-line block ×4, first 2 shown]
	v_add_f64_e32 v[128:129], v[134:135], v[128:129]
	v_fma_f64 v[134:135], v[148:149], s[24:25], -v[82:83]
	v_fma_f64 v[82:83], v[148:149], s[24:25], v[82:83]
	v_add_f64_e32 v[84:85], v[84:85], v[116:117]
	v_fma_f64 v[116:117], v[176:177], s[14:15], v[170:171]
	v_fma_f64 v[130:131], v[110:111], s[10:11], -v[152:153]
	v_fma_f64 v[150:151], v[110:111], s[10:11], v[152:153]
	s_delay_alu instid0(VALU_DEP_2) | instskip(SKIP_1) | instid1(VALU_DEP_3)
	v_add_f64_e32 v[130:131], v[130:131], v[140:141]
	v_mul_f64_e32 v[140:141], s[20:21], v[64:65]
	v_add_f64_e32 v[114:115], v[150:151], v[114:115]
	v_mul_f64_e32 v[64:65], s[2:3], v[64:65]
	s_delay_alu instid0(VALU_DEP_4) | instskip(NEXT) | instid1(VALU_DEP_4)
	v_add_f64_e32 v[130:131], v[134:135], v[130:131]
	v_fma_f64 v[134:135], v[162:163], s[0:1], v[140:141]
	s_delay_alu instid0(VALU_DEP_4) | instskip(SKIP_1) | instid1(VALU_DEP_3)
	v_add_f64_e32 v[82:83], v[82:83], v[114:115]
	v_fma_f64 v[114:115], v[162:163], s[0:1], -v[140:141]
	v_add_f64_e32 v[128:129], v[134:135], v[128:129]
	v_fma_f64 v[134:135], v[164:165], s[0:1], -v[154:155]
	s_delay_alu instid0(VALU_DEP_3) | instskip(SKIP_1) | instid1(VALU_DEP_3)
	v_add_f64_e32 v[84:85], v[114:115], v[84:85]
	v_fma_f64 v[114:115], v[164:165], s[0:1], v[154:155]
	v_add_f64_e32 v[130:131], v[134:135], v[130:131]
	v_fma_f64 v[134:135], v[166:167], s[12:13], v[156:157]
	s_delay_alu instid0(VALU_DEP_3) | instskip(SKIP_1) | instid1(VALU_DEP_3)
	v_add_f64_e32 v[82:83], v[114:115], v[82:83]
	v_fma_f64 v[114:115], v[166:167], s[12:13], -v[156:157]
	v_add_f64_e32 v[128:129], v[134:135], v[128:129]
	v_fma_f64 v[134:135], v[168:169], s[12:13], -v[158:159]
	s_delay_alu instid0(VALU_DEP_3) | instskip(SKIP_1) | instid1(VALU_DEP_3)
	v_add_f64_e32 v[84:85], v[114:115], v[84:85]
	v_fma_f64 v[114:115], v[168:169], s[12:13], v[158:159]
	v_add_f64_e32 v[134:135], v[134:135], v[130:131]
	v_fma_f64 v[130:131], v[172:173], s[14:15], v[160:161]
	s_delay_alu instid0(VALU_DEP_3) | instskip(SKIP_1) | instid1(VALU_DEP_3)
	v_add_f64_e32 v[82:83], v[114:115], v[82:83]
	v_fma_f64 v[114:115], v[172:173], s[14:15], -v[160:161]
	v_add_f64_e32 v[130:131], v[130:131], v[128:129]
	v_fma_f64 v[128:129], v[176:177], s[14:15], -v[170:171]
	s_delay_alu instid0(VALU_DEP_3) | instskip(SKIP_2) | instid1(VALU_DEP_4)
	v_add_f64_e32 v[84:85], v[114:115], v[84:85]
	v_fma_f64 v[114:115], v[0:1], s[12:13], v[190:191]
	v_add_f64_e32 v[82:83], v[116:117], v[82:83]
	v_add_f64_e32 v[128:129], v[128:129], v[134:135]
	v_fma_f64 v[134:135], v[0:1], s[6:7], -v[174:175]
	s_delay_alu instid0(VALU_DEP_4) | instskip(NEXT) | instid1(VALU_DEP_2)
	v_add_f64_e32 v[108:109], v[114:115], v[108:109]
	v_add_f64_e32 v[134:135], v[134:135], v[146:147]
	v_mul_f64_e32 v[146:147], s[2:3], v[70:71]
	s_delay_alu instid0(VALU_DEP_1) | instskip(NEXT) | instid1(VALU_DEP_1)
	v_fma_f64 v[136:137], v[110:111], s[6:7], v[146:147]
	v_add_f64_e32 v[132:133], v[136:137], v[132:133]
	v_fma_f64 v[136:137], v[112:113], s[12:13], -v[178:179]
	s_delay_alu instid0(VALU_DEP_1) | instskip(SKIP_1) | instid1(VALU_DEP_1)
	v_add_f64_e32 v[134:135], v[136:137], v[134:135]
	v_fma_f64 v[136:137], v[148:149], s[12:13], v[180:181]
	v_add_f64_e32 v[132:133], v[136:137], v[132:133]
	v_fma_f64 v[136:137], v[162:163], s[10:11], -v[182:183]
	s_delay_alu instid0(VALU_DEP_1) | instskip(SKIP_1) | instid1(VALU_DEP_1)
	v_add_f64_e32 v[134:135], v[136:137], v[134:135]
	;; [unrolled: 5-line block ×3, first 2 shown]
	v_fma_f64 v[136:137], v[168:169], s[0:1], v[188:189]
	v_add_f64_e32 v[132:133], v[136:137], v[132:133]
	v_fma_f64 v[136:137], v[172:173], s[24:25], -v[74:75]
	v_fma_f64 v[74:75], v[172:173], s[24:25], v[74:75]
	s_delay_alu instid0(VALU_DEP_2) | instskip(SKIP_1) | instid1(VALU_DEP_1)
	v_add_f64_e32 v[134:135], v[136:137], v[134:135]
	v_fma_f64 v[136:137], v[176:177], s[24:25], v[76:77]
	v_add_f64_e32 v[132:133], v[136:137], v[132:133]
	v_fma_f64 v[136:137], v[0:1], s[12:13], -v[190:191]
	s_delay_alu instid0(VALU_DEP_1) | instskip(SKIP_2) | instid1(VALU_DEP_2)
	v_add_f64_e32 v[136:137], v[136:137], v[142:143]
	v_mul_f64_e32 v[142:143], s[18:19], v[70:71]
	v_mul_f64_e32 v[70:71], s[22:23], v[70:71]
	v_fma_f64 v[138:139], v[110:111], s[12:13], v[142:143]
	v_fma_f64 v[114:115], v[110:111], s[12:13], -v[142:143]
	s_delay_alu instid0(VALU_DEP_2) | instskip(SKIP_1) | instid1(VALU_DEP_3)
	v_add_f64_e32 v[138:139], v[138:139], v[144:145]
	v_mul_f64_e32 v[144:145], s[4:5], v[68:69]
	v_add_f64_e32 v[106:107], v[114:115], v[106:107]
	v_mul_f64_e32 v[68:69], s[20:21], v[68:69]
	s_delay_alu instid0(VALU_DEP_3) | instskip(SKIP_1) | instid1(VALU_DEP_2)
	v_fma_f64 v[192:193], v[112:113], s[6:7], -v[144:145]
	v_fma_f64 v[114:115], v[112:113], s[6:7], v[144:145]
	v_add_f64_e32 v[136:137], v[192:193], v[136:137]
	v_mul_f64_e32 v[192:193], s[4:5], v[66:67]
	s_delay_alu instid0(VALU_DEP_3) | instskip(SKIP_1) | instid1(VALU_DEP_3)
	v_add_f64_e32 v[108:109], v[114:115], v[108:109]
	v_mul_f64_e32 v[66:67], s[20:21], v[66:67]
	v_fma_f64 v[194:195], v[148:149], s[6:7], v[192:193]
	v_fma_f64 v[114:115], v[148:149], s[6:7], -v[192:193]
	s_delay_alu instid0(VALU_DEP_2) | instskip(SKIP_1) | instid1(VALU_DEP_3)
	v_add_f64_e32 v[138:139], v[194:195], v[138:139]
	v_fma_f64 v[194:195], v[162:163], s[24:25], -v[80:81]
	v_add_f64_e32 v[106:107], v[114:115], v[106:107]
	v_fma_f64 v[80:81], v[162:163], s[24:25], v[80:81]
	s_delay_alu instid0(VALU_DEP_3) | instskip(SKIP_2) | instid1(VALU_DEP_4)
	v_add_f64_e32 v[136:137], v[194:195], v[136:137]
	v_fma_f64 v[194:195], v[164:165], s[24:25], v[78:79]
	v_fma_f64 v[78:79], v[164:165], s[24:25], -v[78:79]
	v_add_f64_e32 v[80:81], v[80:81], v[108:109]
	v_fma_f64 v[108:109], v[176:177], s[10:11], -v[202:203]
	s_delay_alu instid0(VALU_DEP_4) | instskip(SKIP_2) | instid1(VALU_DEP_2)
	v_add_f64_e32 v[138:139], v[194:195], v[138:139]
	v_mul_f64_e32 v[194:195], s[22:23], v[48:49]
	v_add_f64_e32 v[78:79], v[78:79], v[106:107]
	v_fma_f64 v[196:197], v[166:167], s[14:15], -v[194:195]
	v_fma_f64 v[106:107], v[166:167], s[14:15], v[194:195]
	s_delay_alu instid0(VALU_DEP_2) | instskip(SKIP_1) | instid1(VALU_DEP_3)
	v_add_f64_e32 v[136:137], v[196:197], v[136:137]
	v_mul_f64_e32 v[196:197], s[22:23], v[22:23]
	v_add_f64_e32 v[80:81], v[106:107], v[80:81]
	v_mul_f64_e32 v[22:23], s[16:17], v[22:23]
	s_delay_alu instid0(VALU_DEP_3) | instskip(SKIP_1) | instid1(VALU_DEP_2)
	v_fma_f64 v[106:107], v[168:169], s[14:15], -v[196:197]
	v_fma_f64 v[198:199], v[168:169], s[14:15], v[196:197]
	v_add_f64_e32 v[78:79], v[106:107], v[78:79]
	v_fma_f64 v[106:107], v[172:173], s[10:11], v[200:201]
	s_delay_alu instid0(VALU_DEP_3) | instskip(SKIP_1) | instid1(VALU_DEP_4)
	v_add_f64_e32 v[198:199], v[198:199], v[138:139]
	v_fma_f64 v[138:139], v[172:173], s[10:11], -v[200:201]
	v_add_f64_e32 v[78:79], v[108:109], v[78:79]
	s_delay_alu instid0(VALU_DEP_4) | instskip(SKIP_1) | instid1(VALU_DEP_4)
	v_add_f64_e32 v[80:81], v[106:107], v[80:81]
	v_fma_f64 v[106:107], v[0:1], s[6:7], v[174:175]
	v_add_f64_e32 v[138:139], v[138:139], v[136:137]
	v_fma_f64 v[136:137], v[176:177], s[10:11], v[202:203]
	s_delay_alu instid0(VALU_DEP_3) | instskip(SKIP_1) | instid1(VALU_DEP_3)
	v_add_f64_e32 v[100:101], v[106:107], v[100:101]
	v_fma_f64 v[106:107], v[110:111], s[6:7], -v[146:147]
	v_add_f64_e32 v[136:137], v[136:137], v[198:199]
	s_delay_alu instid0(VALU_DEP_2) | instskip(SKIP_1) | instid1(VALU_DEP_1)
	v_add_f64_e32 v[98:99], v[106:107], v[98:99]
	v_fma_f64 v[106:107], v[112:113], s[12:13], v[178:179]
	v_add_f64_e32 v[100:101], v[106:107], v[100:101]
	v_fma_f64 v[106:107], v[148:149], s[12:13], -v[180:181]
	s_delay_alu instid0(VALU_DEP_1) | instskip(SKIP_1) | instid1(VALU_DEP_1)
	v_add_f64_e32 v[98:99], v[106:107], v[98:99]
	v_fma_f64 v[106:107], v[162:163], s[10:11], v[182:183]
	v_add_f64_e32 v[100:101], v[106:107], v[100:101]
	v_fma_f64 v[106:107], v[164:165], s[10:11], -v[184:185]
	s_delay_alu instid0(VALU_DEP_1) | instskip(SKIP_1) | instid1(VALU_DEP_1)
	v_add_f64_e32 v[98:99], v[106:107], v[98:99]
	v_fma_f64 v[106:107], v[166:167], s[0:1], v[186:187]
	v_add_f64_e32 v[100:101], v[106:107], v[100:101]
	v_fma_f64 v[106:107], v[168:169], s[0:1], -v[188:189]
	s_delay_alu instid0(VALU_DEP_1) | instskip(SKIP_1) | instid1(VALU_DEP_4)
	v_add_f64_e32 v[98:99], v[106:107], v[98:99]
	v_fma_f64 v[106:107], v[176:177], s[24:25], -v[76:77]
	v_add_f64_e32 v[76:77], v[74:75], v[100:101]
	s_delay_alu instid0(VALU_DEP_2) | instskip(SKIP_2) | instid1(VALU_DEP_2)
	v_add_f64_e32 v[74:75], v[106:107], v[98:99]
	v_fma_f64 v[98:99], v[0:1], s[14:15], -v[72:73]
	v_fma_f64 v[0:1], v[0:1], s[14:15], v[72:73]
	v_add_f64_e32 v[96:97], v[98:99], v[96:97]
	v_fma_f64 v[98:99], v[110:111], s[14:15], v[70:71]
	s_delay_alu instid0(VALU_DEP_3) | instskip(NEXT) | instid1(VALU_DEP_2)
	v_add_f64_e32 v[0:1], v[0:1], v[88:89]
	v_add_f64_e32 v[2:3], v[98:99], v[2:3]
	v_fma_f64 v[98:99], v[112:113], s[0:1], -v[68:69]
	s_delay_alu instid0(VALU_DEP_1) | instskip(SKIP_1) | instid1(VALU_DEP_1)
	v_add_f64_e32 v[96:97], v[98:99], v[96:97]
	v_fma_f64 v[98:99], v[148:149], s[0:1], v[66:67]
	v_add_f64_e32 v[2:3], v[98:99], v[2:3]
	v_fma_f64 v[98:99], v[162:163], s[6:7], -v[64:65]
	s_delay_alu instid0(VALU_DEP_1) | instskip(SKIP_1) | instid1(VALU_DEP_1)
	v_add_f64_e32 v[96:97], v[98:99], v[96:97]
	v_fma_f64 v[98:99], v[164:165], s[6:7], v[62:63]
	v_add_f64_e32 v[2:3], v[98:99], v[2:3]
	v_mul_f64_e32 v[98:99], s[16:17], v[48:49]
	s_delay_alu instid0(VALU_DEP_1) | instskip(NEXT) | instid1(VALU_DEP_1)
	v_fma_f64 v[48:49], v[166:167], s[10:11], -v[98:99]
	v_add_f64_e32 v[48:49], v[48:49], v[96:97]
	v_fma_f64 v[96:97], v[168:169], s[10:11], v[22:23]
	s_delay_alu instid0(VALU_DEP_1) | instskip(SKIP_2) | instid1(VALU_DEP_1)
	v_add_f64_e32 v[2:3], v[96:97], v[2:3]
	v_mul_f64_e32 v[96:97], s[18:19], v[50:51]
	v_fma_f64 v[50:51], v[172:173], s[12:13], -v[26:27]
	v_add_f64_e32 v[50:51], v[50:51], v[48:49]
	s_delay_alu instid0(VALU_DEP_3) | instskip(NEXT) | instid1(VALU_DEP_1)
	v_fma_f64 v[48:49], v[176:177], s[12:13], v[96:97]
	v_add_f64_e32 v[48:49], v[48:49], v[2:3]
	v_add_f64_e32 v[2:3], v[86:87], v[58:59]
	s_delay_alu instid0(VALU_DEP_1) | instskip(NEXT) | instid1(VALU_DEP_1)
	v_add_f64_e32 v[2:3], v[2:3], v[42:43]
	v_add_f64_e32 v[2:3], v[2:3], v[34:35]
	s_delay_alu instid0(VALU_DEP_1) | instskip(NEXT) | instid1(VALU_DEP_1)
	v_add_f64_e32 v[2:3], v[2:3], v[44:45]
	v_add_f64_e32 v[2:3], v[2:3], v[18:19]
	;; [unrolled: 1-line block ×3, first 2 shown]
	s_delay_alu instid0(VALU_DEP_2) | instskip(NEXT) | instid1(VALU_DEP_2)
	v_add_f64_e32 v[2:3], v[2:3], v[20:21]
	v_add_f64_e32 v[16:17], v[18:19], v[16:17]
	s_delay_alu instid0(VALU_DEP_2) | instskip(NEXT) | instid1(VALU_DEP_2)
	v_add_f64_e32 v[2:3], v[2:3], v[28:29]
	v_add_f64_e32 v[16:17], v[16:17], v[40:41]
	;; [unrolled: 3-line block ×3, first 2 shown]
	v_fma_f64 v[14:15], v[164:165], s[6:7], -v[62:63]
	s_delay_alu instid0(VALU_DEP_3) | instskip(NEXT) | instid1(VALU_DEP_3)
	v_add_f64_e32 v[2:3], v[2:3], v[6:7]
	v_add_f64_e32 v[4:5], v[12:13], v[4:5]
	v_fma_f64 v[12:13], v[162:163], s[6:7], v[64:65]
	s_delay_alu instid0(VALU_DEP_3) | instskip(NEXT) | instid1(VALU_DEP_3)
	v_add_f64_e32 v[2:3], v[2:3], v[38:39]
	v_add_f64_e32 v[6:7], v[4:5], v[36:37]
	s_delay_alu instid0(VALU_DEP_2) | instskip(NEXT) | instid1(VALU_DEP_2)
	v_add_f64_e32 v[4:5], v[2:3], v[10:11]
	v_add_f64_e32 v[2:3], v[6:7], v[8:9]
	v_fma_f64 v[6:7], v[110:111], s[14:15], -v[70:71]
	v_fma_f64 v[8:9], v[112:113], s[0:1], v[68:69]
	v_fma_f64 v[10:11], v[148:149], s[0:1], -v[66:67]
	s_delay_alu instid0(VALU_DEP_3) | instskip(NEXT) | instid1(VALU_DEP_3)
	v_add_f64_e32 v[6:7], v[6:7], v[90:91]
	v_add_f64_e32 v[0:1], v[8:9], v[0:1]
	v_fma_f64 v[8:9], v[166:167], s[10:11], v[98:99]
	s_delay_alu instid0(VALU_DEP_3) | instskip(SKIP_1) | instid1(VALU_DEP_4)
	v_add_f64_e32 v[6:7], v[10:11], v[6:7]
	v_fma_f64 v[10:11], v[168:169], s[10:11], -v[22:23]
	v_add_f64_e32 v[0:1], v[12:13], v[0:1]
	v_fma_f64 v[12:13], v[172:173], s[12:13], v[26:27]
	s_delay_alu instid0(VALU_DEP_4) | instskip(SKIP_1) | instid1(VALU_DEP_4)
	v_add_f64_e32 v[6:7], v[14:15], v[6:7]
	v_fma_f64 v[14:15], v[176:177], s[12:13], -v[96:97]
	v_add_f64_e32 v[0:1], v[8:9], v[0:1]
	s_delay_alu instid0(VALU_DEP_3) | instskip(NEXT) | instid1(VALU_DEP_2)
	v_add_f64_e32 v[6:7], v[10:11], v[6:7]
	v_add_f64_e32 v[8:9], v[12:13], v[0:1]
	s_delay_alu instid0(VALU_DEP_2)
	v_add_f64_e32 v[6:7], v[14:15], v[6:7]
	ds_store_b128 v53, v[132:135] offset:192
	ds_store_b128 v53, v[136:139] offset:288
	;; [unrolled: 1-line block ×11, first 2 shown]
	ds_store_b128 v119, v[2:5]
	ds_store_b128 v53, v[6:9] offset:1152
.LBB0_20:
	s_or_b32 exec_lo, exec_lo, s30
	global_wb scope:SCOPE_SE
	s_wait_dscnt 0x0
	s_barrier_signal -1
	s_barrier_wait -1
	global_inv scope:SCOPE_SE
	s_and_saveexec_b32 s0, vcc_lo
	s_cbranch_execz .LBB0_22
; %bb.21:
	v_dual_mov_b32 v53, 0 :: v_dual_add_nc_u32 v2, 13, v52
	v_add_co_u32 v36, vcc_lo, s8, v54
	s_wait_alu 0xfffd
	v_add_co_ci_u32_e32 v37, vcc_lo, s9, v55, vcc_lo
	s_delay_alu instid0(VALU_DEP_3) | instskip(SKIP_2) | instid1(VALU_DEP_3)
	v_dual_mov_b32 v3, v53 :: v_dual_add_nc_u32 v10, 26, v52
	v_lshlrev_b64_e32 v[0:1], 4, v[52:53]
	v_dual_mov_b32 v11, v53 :: v_dual_add_nc_u32 v16, 39, v52
	v_lshlrev_b64_e32 v[8:9], 4, v[2:3]
	v_lshl_add_u32 v20, v52, 4, v118
	v_dual_mov_b32 v17, v53 :: v_dual_add_nc_u32 v18, 52, v52
	v_add_co_u32 v24, vcc_lo, v36, v0
	s_wait_alu 0xfffd
	v_add_co_ci_u32_e32 v25, vcc_lo, v37, v1, vcc_lo
	v_add_co_u32 v26, vcc_lo, v36, v8
	s_wait_alu 0xfffd
	v_add_co_ci_u32_e32 v27, vcc_lo, v37, v9, vcc_lo
	v_lshlrev_b64_e32 v[8:9], 4, v[10:11]
	v_dual_mov_b32 v19, v53 :: v_dual_add_nc_u32 v52, 0x41, v52
	ds_load_b128 v[0:3], v20
	ds_load_b128 v[4:7], v20 offset:208
	v_lshlrev_b64_e32 v[30:31], 4, v[16:17]
	v_add_co_u32 v28, vcc_lo, v36, v8
	s_wait_alu 0xfffd
	v_add_co_ci_u32_e32 v29, vcc_lo, v37, v9, vcc_lo
	ds_load_b128 v[8:11], v20 offset:416
	ds_load_b128 v[12:15], v20 offset:624
	v_lshlrev_b64_e32 v[32:33], 4, v[18:19]
	ds_load_b128 v[16:19], v20 offset:832
	ds_load_b128 v[20:23], v20 offset:1040
	v_add_co_u32 v30, vcc_lo, v36, v30
	v_lshlrev_b64_e32 v[34:35], 4, v[52:53]
	s_wait_alu 0xfffd
	v_add_co_ci_u32_e32 v31, vcc_lo, v37, v31, vcc_lo
	v_add_co_u32 v32, vcc_lo, v36, v32
	s_wait_alu 0xfffd
	v_add_co_ci_u32_e32 v33, vcc_lo, v37, v33, vcc_lo
	v_add_co_u32 v34, vcc_lo, v36, v34
	s_wait_alu 0xfffd
	v_add_co_ci_u32_e32 v35, vcc_lo, v37, v35, vcc_lo
	s_wait_dscnt 0x5
	global_store_b128 v[24:25], v[0:3], off
	s_wait_dscnt 0x4
	global_store_b128 v[26:27], v[4:7], off
	;; [unrolled: 2-line block ×6, first 2 shown]
.LBB0_22:
	s_nop 0
	s_sendmsg sendmsg(MSG_DEALLOC_VGPRS)
	s_endpgm
	.section	.rodata,"a",@progbits
	.p2align	6, 0x0
	.amdhsa_kernel fft_rtc_back_len78_factors_6_13_wgs_247_tpt_13_dp_ip_CI_unitstride_sbrr_C2R_dirReg
		.amdhsa_group_segment_fixed_size 0
		.amdhsa_private_segment_fixed_size 0
		.amdhsa_kernarg_size 88
		.amdhsa_user_sgpr_count 2
		.amdhsa_user_sgpr_dispatch_ptr 0
		.amdhsa_user_sgpr_queue_ptr 0
		.amdhsa_user_sgpr_kernarg_segment_ptr 1
		.amdhsa_user_sgpr_dispatch_id 0
		.amdhsa_user_sgpr_private_segment_size 0
		.amdhsa_wavefront_size32 1
		.amdhsa_uses_dynamic_stack 0
		.amdhsa_enable_private_segment 0
		.amdhsa_system_sgpr_workgroup_id_x 1
		.amdhsa_system_sgpr_workgroup_id_y 0
		.amdhsa_system_sgpr_workgroup_id_z 0
		.amdhsa_system_sgpr_workgroup_info 0
		.amdhsa_system_vgpr_workitem_id 0
		.amdhsa_next_free_vgpr 204
		.amdhsa_next_free_sgpr 36
		.amdhsa_reserve_vcc 1
		.amdhsa_float_round_mode_32 0
		.amdhsa_float_round_mode_16_64 0
		.amdhsa_float_denorm_mode_32 3
		.amdhsa_float_denorm_mode_16_64 3
		.amdhsa_fp16_overflow 0
		.amdhsa_workgroup_processor_mode 1
		.amdhsa_memory_ordered 1
		.amdhsa_forward_progress 0
		.amdhsa_round_robin_scheduling 0
		.amdhsa_exception_fp_ieee_invalid_op 0
		.amdhsa_exception_fp_denorm_src 0
		.amdhsa_exception_fp_ieee_div_zero 0
		.amdhsa_exception_fp_ieee_overflow 0
		.amdhsa_exception_fp_ieee_underflow 0
		.amdhsa_exception_fp_ieee_inexact 0
		.amdhsa_exception_int_div_zero 0
	.end_amdhsa_kernel
	.text
.Lfunc_end0:
	.size	fft_rtc_back_len78_factors_6_13_wgs_247_tpt_13_dp_ip_CI_unitstride_sbrr_C2R_dirReg, .Lfunc_end0-fft_rtc_back_len78_factors_6_13_wgs_247_tpt_13_dp_ip_CI_unitstride_sbrr_C2R_dirReg
                                        ; -- End function
	.section	.AMDGPU.csdata,"",@progbits
; Kernel info:
; codeLenInByte = 7036
; NumSgprs: 38
; NumVgprs: 204
; ScratchSize: 0
; MemoryBound: 0
; FloatMode: 240
; IeeeMode: 1
; LDSByteSize: 0 bytes/workgroup (compile time only)
; SGPRBlocks: 4
; VGPRBlocks: 25
; NumSGPRsForWavesPerEU: 38
; NumVGPRsForWavesPerEU: 204
; Occupancy: 7
; WaveLimiterHint : 1
; COMPUTE_PGM_RSRC2:SCRATCH_EN: 0
; COMPUTE_PGM_RSRC2:USER_SGPR: 2
; COMPUTE_PGM_RSRC2:TRAP_HANDLER: 0
; COMPUTE_PGM_RSRC2:TGID_X_EN: 1
; COMPUTE_PGM_RSRC2:TGID_Y_EN: 0
; COMPUTE_PGM_RSRC2:TGID_Z_EN: 0
; COMPUTE_PGM_RSRC2:TIDIG_COMP_CNT: 0
	.text
	.p2alignl 7, 3214868480
	.fill 96, 4, 3214868480
	.type	__hip_cuid_7daebc697e441b40,@object ; @__hip_cuid_7daebc697e441b40
	.section	.bss,"aw",@nobits
	.globl	__hip_cuid_7daebc697e441b40
__hip_cuid_7daebc697e441b40:
	.byte	0                               ; 0x0
	.size	__hip_cuid_7daebc697e441b40, 1

	.ident	"AMD clang version 19.0.0git (https://github.com/RadeonOpenCompute/llvm-project roc-6.4.0 25133 c7fe45cf4b819c5991fe208aaa96edf142730f1d)"
	.section	".note.GNU-stack","",@progbits
	.addrsig
	.addrsig_sym __hip_cuid_7daebc697e441b40
	.amdgpu_metadata
---
amdhsa.kernels:
  - .args:
      - .actual_access:  read_only
        .address_space:  global
        .offset:         0
        .size:           8
        .value_kind:     global_buffer
      - .offset:         8
        .size:           8
        .value_kind:     by_value
      - .actual_access:  read_only
        .address_space:  global
        .offset:         16
        .size:           8
        .value_kind:     global_buffer
      - .actual_access:  read_only
        .address_space:  global
        .offset:         24
        .size:           8
        .value_kind:     global_buffer
      - .offset:         32
        .size:           8
        .value_kind:     by_value
      - .actual_access:  read_only
        .address_space:  global
        .offset:         40
        .size:           8
        .value_kind:     global_buffer
      - .actual_access:  read_only
        .address_space:  global
        .offset:         48
        .size:           8
        .value_kind:     global_buffer
      - .offset:         56
        .size:           4
        .value_kind:     by_value
      - .actual_access:  read_only
        .address_space:  global
        .offset:         64
        .size:           8
        .value_kind:     global_buffer
      - .actual_access:  read_only
        .address_space:  global
        .offset:         72
        .size:           8
        .value_kind:     global_buffer
      - .address_space:  global
        .offset:         80
        .size:           8
        .value_kind:     global_buffer
    .group_segment_fixed_size: 0
    .kernarg_segment_align: 8
    .kernarg_segment_size: 88
    .language:       OpenCL C
    .language_version:
      - 2
      - 0
    .max_flat_workgroup_size: 247
    .name:           fft_rtc_back_len78_factors_6_13_wgs_247_tpt_13_dp_ip_CI_unitstride_sbrr_C2R_dirReg
    .private_segment_fixed_size: 0
    .sgpr_count:     38
    .sgpr_spill_count: 0
    .symbol:         fft_rtc_back_len78_factors_6_13_wgs_247_tpt_13_dp_ip_CI_unitstride_sbrr_C2R_dirReg.kd
    .uniform_work_group_size: 1
    .uses_dynamic_stack: false
    .vgpr_count:     204
    .vgpr_spill_count: 0
    .wavefront_size: 32
    .workgroup_processor_mode: 1
amdhsa.target:   amdgcn-amd-amdhsa--gfx1201
amdhsa.version:
  - 1
  - 2
...

	.end_amdgpu_metadata
